;; amdgpu-corpus repo=ROCm/rocFFT kind=compiled arch=gfx906 opt=O3
	.text
	.amdgcn_target "amdgcn-amd-amdhsa--gfx906"
	.amdhsa_code_object_version 6
	.protected	fft_rtc_back_len990_factors_2_3_3_5_11_wgs_110_tpt_110_dp_ip_CI_unitstride_sbrr_dirReg ; -- Begin function fft_rtc_back_len990_factors_2_3_3_5_11_wgs_110_tpt_110_dp_ip_CI_unitstride_sbrr_dirReg
	.globl	fft_rtc_back_len990_factors_2_3_3_5_11_wgs_110_tpt_110_dp_ip_CI_unitstride_sbrr_dirReg
	.p2align	8
	.type	fft_rtc_back_len990_factors_2_3_3_5_11_wgs_110_tpt_110_dp_ip_CI_unitstride_sbrr_dirReg,@function
fft_rtc_back_len990_factors_2_3_3_5_11_wgs_110_tpt_110_dp_ip_CI_unitstride_sbrr_dirReg: ; @fft_rtc_back_len990_factors_2_3_3_5_11_wgs_110_tpt_110_dp_ip_CI_unitstride_sbrr_dirReg
; %bb.0:
	s_load_dwordx2 s[2:3], s[4:5], 0x50
	s_load_dwordx4 s[8:11], s[4:5], 0x0
	s_load_dwordx2 s[12:13], s[4:5], 0x18
	v_mul_u32_u24_e32 v1, 0x254, v0
	v_add_u32_sdwa v5, s6, v1 dst_sel:DWORD dst_unused:UNUSED_PAD src0_sel:DWORD src1_sel:WORD_1
	v_mov_b32_e32 v3, 0
	s_waitcnt lgkmcnt(0)
	v_cmp_lt_u64_e64 s[0:1], s[10:11], 2
	v_mov_b32_e32 v1, 0
	v_mov_b32_e32 v6, v3
	s_and_b64 vcc, exec, s[0:1]
	v_mov_b32_e32 v2, 0
	s_cbranch_vccnz .LBB0_8
; %bb.1:
	s_load_dwordx2 s[0:1], s[4:5], 0x10
	s_add_u32 s6, s12, 8
	s_addc_u32 s7, s13, 0
	v_mov_b32_e32 v1, 0
	v_mov_b32_e32 v2, 0
	s_waitcnt lgkmcnt(0)
	s_add_u32 s14, s0, 8
	s_addc_u32 s15, s1, 0
	s_mov_b64 s[16:17], 1
.LBB0_2:                                ; =>This Inner Loop Header: Depth=1
	s_load_dwordx2 s[18:19], s[14:15], 0x0
                                        ; implicit-def: $vgpr7_vgpr8
	s_waitcnt lgkmcnt(0)
	v_or_b32_e32 v4, s19, v6
	v_cmp_ne_u64_e32 vcc, 0, v[3:4]
	s_and_saveexec_b64 s[0:1], vcc
	s_xor_b64 s[20:21], exec, s[0:1]
	s_cbranch_execz .LBB0_4
; %bb.3:                                ;   in Loop: Header=BB0_2 Depth=1
	v_cvt_f32_u32_e32 v4, s18
	v_cvt_f32_u32_e32 v7, s19
	s_sub_u32 s0, 0, s18
	s_subb_u32 s1, 0, s19
	v_mac_f32_e32 v4, 0x4f800000, v7
	v_rcp_f32_e32 v4, v4
	v_mul_f32_e32 v4, 0x5f7ffffc, v4
	v_mul_f32_e32 v7, 0x2f800000, v4
	v_trunc_f32_e32 v7, v7
	v_mac_f32_e32 v4, 0xcf800000, v7
	v_cvt_u32_f32_e32 v7, v7
	v_cvt_u32_f32_e32 v4, v4
	v_mul_lo_u32 v8, s0, v7
	v_mul_hi_u32 v9, s0, v4
	v_mul_lo_u32 v11, s1, v4
	v_mul_lo_u32 v10, s0, v4
	v_add_u32_e32 v8, v9, v8
	v_add_u32_e32 v8, v8, v11
	v_mul_hi_u32 v9, v4, v10
	v_mul_lo_u32 v11, v4, v8
	v_mul_hi_u32 v13, v4, v8
	v_mul_hi_u32 v12, v7, v10
	v_mul_lo_u32 v10, v7, v10
	v_mul_hi_u32 v14, v7, v8
	v_add_co_u32_e32 v9, vcc, v9, v11
	v_addc_co_u32_e32 v11, vcc, 0, v13, vcc
	v_mul_lo_u32 v8, v7, v8
	v_add_co_u32_e32 v9, vcc, v9, v10
	v_addc_co_u32_e32 v9, vcc, v11, v12, vcc
	v_addc_co_u32_e32 v10, vcc, 0, v14, vcc
	v_add_co_u32_e32 v8, vcc, v9, v8
	v_addc_co_u32_e32 v9, vcc, 0, v10, vcc
	v_add_co_u32_e32 v4, vcc, v4, v8
	v_addc_co_u32_e32 v7, vcc, v7, v9, vcc
	v_mul_lo_u32 v8, s0, v7
	v_mul_hi_u32 v9, s0, v4
	v_mul_lo_u32 v10, s1, v4
	v_mul_lo_u32 v11, s0, v4
	v_add_u32_e32 v8, v9, v8
	v_add_u32_e32 v8, v8, v10
	v_mul_lo_u32 v12, v4, v8
	v_mul_hi_u32 v13, v4, v11
	v_mul_hi_u32 v14, v4, v8
	;; [unrolled: 1-line block ×3, first 2 shown]
	v_mul_lo_u32 v11, v7, v11
	v_mul_hi_u32 v9, v7, v8
	v_add_co_u32_e32 v12, vcc, v13, v12
	v_addc_co_u32_e32 v13, vcc, 0, v14, vcc
	v_mul_lo_u32 v8, v7, v8
	v_add_co_u32_e32 v11, vcc, v12, v11
	v_addc_co_u32_e32 v10, vcc, v13, v10, vcc
	v_addc_co_u32_e32 v9, vcc, 0, v9, vcc
	v_add_co_u32_e32 v8, vcc, v10, v8
	v_addc_co_u32_e32 v9, vcc, 0, v9, vcc
	v_add_co_u32_e32 v4, vcc, v4, v8
	v_addc_co_u32_e32 v9, vcc, v7, v9, vcc
	v_mad_u64_u32 v[7:8], s[0:1], v5, v9, 0
	v_mul_hi_u32 v10, v5, v4
	v_add_co_u32_e32 v11, vcc, v10, v7
	v_addc_co_u32_e32 v12, vcc, 0, v8, vcc
	v_mad_u64_u32 v[7:8], s[0:1], v6, v4, 0
	v_mad_u64_u32 v[9:10], s[0:1], v6, v9, 0
	v_add_co_u32_e32 v4, vcc, v11, v7
	v_addc_co_u32_e32 v4, vcc, v12, v8, vcc
	v_addc_co_u32_e32 v7, vcc, 0, v10, vcc
	v_add_co_u32_e32 v4, vcc, v4, v9
	v_addc_co_u32_e32 v9, vcc, 0, v7, vcc
	v_mul_lo_u32 v10, s19, v4
	v_mul_lo_u32 v11, s18, v9
	v_mad_u64_u32 v[7:8], s[0:1], s18, v4, 0
	v_add3_u32 v8, v8, v11, v10
	v_sub_u32_e32 v10, v6, v8
	v_mov_b32_e32 v11, s19
	v_sub_co_u32_e32 v7, vcc, v5, v7
	v_subb_co_u32_e64 v10, s[0:1], v10, v11, vcc
	v_subrev_co_u32_e64 v11, s[0:1], s18, v7
	v_subbrev_co_u32_e64 v10, s[0:1], 0, v10, s[0:1]
	v_cmp_le_u32_e64 s[0:1], s19, v10
	v_cndmask_b32_e64 v12, 0, -1, s[0:1]
	v_cmp_le_u32_e64 s[0:1], s18, v11
	v_cndmask_b32_e64 v11, 0, -1, s[0:1]
	v_cmp_eq_u32_e64 s[0:1], s19, v10
	v_cndmask_b32_e64 v10, v12, v11, s[0:1]
	v_add_co_u32_e64 v11, s[0:1], 2, v4
	v_addc_co_u32_e64 v12, s[0:1], 0, v9, s[0:1]
	v_add_co_u32_e64 v13, s[0:1], 1, v4
	v_addc_co_u32_e64 v14, s[0:1], 0, v9, s[0:1]
	v_subb_co_u32_e32 v8, vcc, v6, v8, vcc
	v_cmp_ne_u32_e64 s[0:1], 0, v10
	v_cmp_le_u32_e32 vcc, s19, v8
	v_cndmask_b32_e64 v10, v14, v12, s[0:1]
	v_cndmask_b32_e64 v12, 0, -1, vcc
	v_cmp_le_u32_e32 vcc, s18, v7
	v_cndmask_b32_e64 v7, 0, -1, vcc
	v_cmp_eq_u32_e32 vcc, s19, v8
	v_cndmask_b32_e32 v7, v12, v7, vcc
	v_cmp_ne_u32_e32 vcc, 0, v7
	v_cndmask_b32_e64 v7, v13, v11, s[0:1]
	v_cndmask_b32_e32 v8, v9, v10, vcc
	v_cndmask_b32_e32 v7, v4, v7, vcc
.LBB0_4:                                ;   in Loop: Header=BB0_2 Depth=1
	s_andn2_saveexec_b64 s[0:1], s[20:21]
	s_cbranch_execz .LBB0_6
; %bb.5:                                ;   in Loop: Header=BB0_2 Depth=1
	v_cvt_f32_u32_e32 v4, s18
	s_sub_i32 s20, 0, s18
	v_rcp_iflag_f32_e32 v4, v4
	v_mul_f32_e32 v4, 0x4f7ffffe, v4
	v_cvt_u32_f32_e32 v4, v4
	v_mul_lo_u32 v7, s20, v4
	v_mul_hi_u32 v7, v4, v7
	v_add_u32_e32 v4, v4, v7
	v_mul_hi_u32 v4, v5, v4
	v_mul_lo_u32 v7, v4, s18
	v_add_u32_e32 v8, 1, v4
	v_sub_u32_e32 v7, v5, v7
	v_subrev_u32_e32 v9, s18, v7
	v_cmp_le_u32_e32 vcc, s18, v7
	v_cndmask_b32_e32 v7, v7, v9, vcc
	v_cndmask_b32_e32 v4, v4, v8, vcc
	v_add_u32_e32 v8, 1, v4
	v_cmp_le_u32_e32 vcc, s18, v7
	v_cndmask_b32_e32 v7, v4, v8, vcc
	v_mov_b32_e32 v8, v3
.LBB0_6:                                ;   in Loop: Header=BB0_2 Depth=1
	s_or_b64 exec, exec, s[0:1]
	v_mul_lo_u32 v4, v8, s18
	v_mul_lo_u32 v11, v7, s19
	v_mad_u64_u32 v[9:10], s[0:1], v7, s18, 0
	s_load_dwordx2 s[0:1], s[6:7], 0x0
	s_add_u32 s16, s16, 1
	v_add3_u32 v4, v10, v11, v4
	v_sub_co_u32_e32 v5, vcc, v5, v9
	v_subb_co_u32_e32 v4, vcc, v6, v4, vcc
	s_waitcnt lgkmcnt(0)
	v_mul_lo_u32 v4, s0, v4
	v_mul_lo_u32 v6, s1, v5
	v_mad_u64_u32 v[1:2], s[0:1], s0, v5, v[1:2]
	s_addc_u32 s17, s17, 0
	s_add_u32 s6, s6, 8
	v_add3_u32 v2, v6, v2, v4
	v_mov_b32_e32 v4, s10
	v_mov_b32_e32 v5, s11
	s_addc_u32 s7, s7, 0
	v_cmp_ge_u64_e32 vcc, s[16:17], v[4:5]
	s_add_u32 s14, s14, 8
	s_addc_u32 s15, s15, 0
	s_cbranch_vccnz .LBB0_9
; %bb.7:                                ;   in Loop: Header=BB0_2 Depth=1
	v_mov_b32_e32 v5, v7
	v_mov_b32_e32 v6, v8
	s_branch .LBB0_2
.LBB0_8:
	v_mov_b32_e32 v8, v6
	v_mov_b32_e32 v7, v5
.LBB0_9:
	s_lshl_b64 s[0:1], s[10:11], 3
	s_add_u32 s0, s12, s0
	s_addc_u32 s1, s13, s1
	s_load_dwordx2 s[6:7], s[0:1], 0x0
	s_load_dwordx2 s[10:11], s[4:5], 0x20
                                        ; implicit-def: $vgpr30_vgpr31
                                        ; implicit-def: $vgpr18_vgpr19
                                        ; implicit-def: $vgpr10_vgpr11
                                        ; implicit-def: $vgpr38_vgpr39
                                        ; implicit-def: $vgpr14_vgpr15
                                        ; implicit-def: $vgpr22_vgpr23
                                        ; implicit-def: $vgpr26_vgpr27
                                        ; implicit-def: $vgpr34_vgpr35
	s_waitcnt lgkmcnt(0)
	v_mad_u64_u32 v[1:2], s[0:1], s6, v7, v[1:2]
	v_mul_lo_u32 v3, s6, v8
	v_mul_lo_u32 v4, s7, v7
	s_mov_b32 s0, 0x253c826
	v_mul_hi_u32 v5, v0, s0
	v_cmp_gt_u64_e64 s[0:1], s[10:11], v[7:8]
	v_add3_u32 v2, v4, v2, v3
	v_lshlrev_b64 v[46:47], 4, v[1:2]
	v_mul_u32_u24_e32 v3, 0x6e, v5
	v_sub_u32_e32 v44, v0, v3
                                        ; implicit-def: $vgpr6_vgpr7
                                        ; implicit-def: $vgpr2_vgpr3
	s_and_saveexec_b64 s[4:5], s[0:1]
	s_cbranch_execz .LBB0_13
; %bb.10:
	v_mov_b32_e32 v45, 0
	v_mov_b32_e32 v0, s3
	v_add_co_u32_e32 v2, vcc, s2, v46
	v_addc_co_u32_e32 v3, vcc, v0, v47, vcc
	v_lshlrev_b64 v[0:1], 4, v[44:45]
	v_add_co_u32_e32 v6, vcc, v2, v0
	v_addc_co_u32_e32 v7, vcc, v3, v1, vcc
	v_add_co_u32_e32 v4, vcc, 0x1000, v6
	v_addc_co_u32_e32 v5, vcc, 0, v7, vcc
	;; [unrolled: 2-line block ×3, first 2 shown]
	global_load_dwordx4 v[24:27], v[4:5], off offset:3824
	global_load_dwordx4 v[12:15], v[28:29], off offset:1488
	;; [unrolled: 1-line block ×4, first 2 shown]
	v_add_co_u32_e32 v4, vcc, 0x3000, v6
	v_addc_co_u32_e32 v5, vcc, 0, v7, vcc
	global_load_dwordx4 v[36:39], v[28:29], off offset:3248
	global_load_dwordx4 v[16:19], v[4:5], off offset:912
	global_load_dwordx4 v[32:35], v[6:7], off
	global_load_dwordx4 v[20:23], v[6:7], off offset:1760
	v_cmp_gt_u32_e32 vcc, 55, v44
                                        ; implicit-def: $vgpr4_vgpr5
                                        ; implicit-def: $vgpr28_vgpr29
	s_and_saveexec_b64 s[6:7], vcc
	s_cbranch_execz .LBB0_12
; %bb.11:
	v_add_co_u32_e32 v40, vcc, 0x1000, v6
	v_addc_co_u32_e32 v41, vcc, 0, v7, vcc
	v_add_co_u32_e32 v42, vcc, 0x3000, v6
	v_addc_co_u32_e32 v43, vcc, 0, v7, vcc
	global_load_dwordx4 v[4:7], v[40:41], off offset:2944
	global_load_dwordx4 v[28:31], v[42:43], off offset:2672
.LBB0_12:
	s_or_b64 exec, exec, s[6:7]
.LBB0_13:
	s_or_b64 exec, exec, s[4:5]
	s_waitcnt vmcnt(1)
	v_add_f64 v[24:25], v[32:33], -v[24:25]
	v_add_f64 v[26:27], v[34:35], -v[26:27]
	s_waitcnt vmcnt(0)
	v_add_f64 v[12:13], v[20:21], -v[12:13]
	v_add_f64 v[14:15], v[22:23], -v[14:15]
	;; [unrolled: 1-line block ×6, first 2 shown]
	v_fma_f64 v[16:17], v[32:33], 2.0, -v[24:25]
	v_fma_f64 v[18:19], v[34:35], 2.0, -v[26:27]
	;; [unrolled: 1-line block ×6, first 2 shown]
	v_add_f64 v[0:1], v[4:5], -v[28:29]
	v_add_f64 v[2:3], v[6:7], -v[30:31]
	v_fma_f64 v[48:49], v[8:9], 2.0, -v[40:41]
	v_fma_f64 v[50:51], v[10:11], 2.0, -v[42:43]
	v_lshl_add_u32 v9, v44, 5, 0
	ds_write_b128 v9, v[16:19]
	ds_write_b128 v9, v[24:27] offset:16
	v_add_u32_e32 v16, 0x6e, v44
	v_lshl_add_u32 v8, v16, 5, 0
	ds_write_b128 v8, v[20:23]
	ds_write_b128 v8, v[12:15] offset:16
	v_add_u32_e32 v8, 0xdc, v44
	v_lshl_add_u32 v10, v8, 5, 0
	v_cmp_gt_u32_e32 vcc, 55, v44
	ds_write_b128 v10, v[32:35]
	ds_write_b128 v10, v[36:39] offset:16
	ds_write_b128 v9, v[48:51] offset:10560
	;; [unrolled: 1-line block ×3, first 2 shown]
	s_and_saveexec_b64 s[4:5], vcc
	s_cbranch_execz .LBB0_15
; %bb.14:
	v_fma_f64 v[6:7], v[6:7], 2.0, -v[2:3]
	v_fma_f64 v[4:5], v[4:5], 2.0, -v[0:1]
	ds_write_b128 v9, v[4:7] offset:14080
	ds_write_b128 v9, v[0:3] offset:14096
.LBB0_15:
	s_or_b64 exec, exec, s[4:5]
	v_and_b32_e32 v14, 1, v44
	v_lshlrev_b32_e32 v15, 5, v14
	s_waitcnt lgkmcnt(0)
	s_barrier
	global_load_dwordx4 v[4:7], v15, s[8:9]
	global_load_dwordx4 v[10:13], v15, s[8:9] offset:16
	v_lshlrev_b32_e32 v15, 4, v44
	v_lshrrev_b32_e32 v17, 1, v44
	v_lshrrev_b32_e32 v18, 1, v16
	;; [unrolled: 1-line block ×3, first 2 shown]
	s_movk_i32 s10, 0xab
	v_sub_u32_e32 v45, v9, v15
	v_mul_u32_u24_e32 v9, 6, v17
	v_mul_u32_u24_e32 v15, 6, v18
	;; [unrolled: 1-line block ×3, first 2 shown]
	v_mul_lo_u16_sdwa v42, v44, s10 dst_sel:DWORD dst_unused:UNUSED_PAD src0_sel:BYTE_0 src1_sel:DWORD
	ds_read_b128 v[17:20], v45 offset:5280
	ds_read_b128 v[21:24], v45 offset:3520
	;; [unrolled: 1-line block ×7, first 2 shown]
	ds_read_b128 v[52:55], v45
	ds_read_b128 v[56:59], v45 offset:1760
	v_or_b32_e32 v9, v9, v14
	v_or_b32_e32 v15, v15, v14
	v_or_b32_e32 v14, v41, v14
	v_lshrrev_b16_e32 v76, 10, v42
	v_lshl_add_u32 v78, v15, 4, 0
	v_lshl_add_u32 v79, v14, 4, 0
	;; [unrolled: 1-line block ×3, first 2 shown]
	v_mul_lo_u16_e32 v9, 6, v76
	v_sub_u16_e32 v80, v44, v9
	s_mov_b32 s4, 0xe8584caa
	s_mov_b32 s5, 0xbfebb67a
	;; [unrolled: 1-line block ×4, first 2 shown]
	v_mov_b32_e32 v43, 5
	v_lshlrev_b32_sdwa v81, v43, v80 dst_sel:DWORD dst_unused:UNUSED_PAD src0_sel:DWORD src1_sel:BYTE_0
	s_waitcnt vmcnt(0) lgkmcnt(0)
	s_barrier
	v_mul_f64 v[14:15], v[19:20], v[6:7]
	v_mul_f64 v[41:42], v[17:18], v[6:7]
	;; [unrolled: 1-line block ×12, first 2 shown]
	v_fma_f64 v[14:15], v[17:18], v[4:5], v[14:15]
	v_fma_f64 v[17:18], v[19:20], v[4:5], -v[41:42]
	v_fma_f64 v[19:20], v[25:26], v[4:5], v[60:61]
	v_fma_f64 v[25:26], v[27:28], v[4:5], -v[62:63]
	;; [unrolled: 2-line block ×6, first 2 shown]
	v_add_f64 v[6:7], v[14:15], v[27:28]
	v_add_f64 v[9:10], v[17:18], v[33:34]
	v_add_f64 v[11:12], v[54:55], v[17:18]
	v_add_f64 v[41:42], v[52:53], v[14:15]
	v_add_f64 v[48:49], v[17:18], -v[33:34]
	v_add_f64 v[17:18], v[19:20], v[31:32]
	v_add_f64 v[50:51], v[25:26], v[35:36]
	;; [unrolled: 1-line block ×4, first 2 shown]
	v_add_f64 v[64:65], v[25:26], -v[35:36]
	v_add_f64 v[66:67], v[19:20], -v[31:32]
	v_add_f64 v[19:20], v[29:30], v[37:38]
	v_add_f64 v[25:26], v[4:5], v[39:40]
	v_add_f64 v[13:14], v[14:15], -v[27:28]
	v_add_f64 v[70:71], v[21:22], v[29:30]
	v_add_f64 v[74:75], v[29:30], -v[37:38]
	v_fma_f64 v[29:30], v[6:7], -0.5, v[52:53]
	v_fma_f64 v[52:53], v[9:10], -0.5, v[54:55]
	v_add_f64 v[68:69], v[23:24], v[4:5]
	v_add_f64 v[72:73], v[4:5], -v[39:40]
	v_add_f64 v[6:7], v[11:12], v[33:34]
	v_add_f64 v[4:5], v[41:42], v[27:28]
	v_fma_f64 v[33:34], v[17:18], -0.5, v[56:57]
	v_fma_f64 v[41:42], v[50:51], -0.5, v[58:59]
	;; [unrolled: 1-line block ×4, first 2 shown]
	v_fma_f64 v[21:22], v[48:49], s[4:5], v[29:30]
	v_fma_f64 v[23:24], v[13:14], s[6:7], v[52:53]
	;; [unrolled: 1-line block ×4, first 2 shown]
	v_add_f64 v[11:12], v[60:61], v[35:36]
	v_add_f64 v[9:10], v[62:63], v[31:32]
	v_fma_f64 v[29:30], v[64:65], s[4:5], v[33:34]
	v_fma_f64 v[31:32], v[66:67], s[6:7], v[41:42]
	v_mul_lo_u16_sdwa v13, v16, s10 dst_sel:DWORD dst_unused:UNUSED_PAD src0_sel:BYTE_0 src1_sel:DWORD
	v_fma_f64 v[33:34], v[64:65], s[6:7], v[33:34]
	v_fma_f64 v[35:36], v[66:67], s[4:5], v[41:42]
	v_lshrrev_b16_e32 v13, 10, v13
	v_add_f64 v[19:20], v[68:69], v[39:40]
	v_add_f64 v[17:18], v[70:71], v[37:38]
	v_mul_lo_u16_e32 v14, 6, v13
	v_fma_f64 v[37:38], v[72:73], s[4:5], v[50:51]
	v_fma_f64 v[39:40], v[74:75], s[6:7], v[54:55]
	v_sub_u16_e32 v14, v16, v14
	v_fma_f64 v[48:49], v[72:73], s[6:7], v[50:51]
	v_fma_f64 v[50:51], v[74:75], s[4:5], v[54:55]
	ds_write_b128 v77, v[4:7]
	ds_write_b128 v77, v[21:24] offset:32
	ds_write_b128 v77, v[25:28] offset:64
	ds_write_b128 v78, v[9:12]
	ds_write_b128 v78, v[29:32] offset:32
	ds_write_b128 v78, v[33:36] offset:64
	;; [unrolled: 3-line block ×3, first 2 shown]
	s_waitcnt lgkmcnt(0)
	s_barrier
	global_load_dwordx4 v[4:7], v81, s[8:9] offset:64
	global_load_dwordx4 v[9:12], v81, s[8:9] offset:80
	v_lshlrev_b32_sdwa v15, v43, v14 dst_sel:DWORD dst_unused:UNUSED_PAD src0_sel:DWORD src1_sel:BYTE_0
	s_mov_b32 s10, 0xaaab
	global_load_dwordx4 v[17:20], v15, s[8:9] offset:64
	global_load_dwordx4 v[21:24], v15, s[8:9] offset:80
	v_mul_u32_u24_sdwa v15, v8, s10 dst_sel:DWORD dst_unused:UNUSED_PAD src0_sel:WORD_0 src1_sel:DWORD
	v_lshrrev_b32_e32 v15, 18, v15
	v_mul_lo_u16_e32 v25, 6, v15
	v_sub_u16_e32 v8, v8, v25
	v_lshlrev_b32_e32 v33, 5, v8
	global_load_dwordx4 v[25:28], v33, s[8:9] offset:64
	global_load_dwordx4 v[29:32], v33, s[8:9] offset:80
	v_mov_b32_e32 v42, 4
	v_mul_u32_u24_e32 v33, 0x120, v76
	v_mul_u32_u24_e32 v13, 0x120, v13
	v_lshlrev_b32_sdwa v34, v42, v80 dst_sel:DWORD dst_unused:UNUSED_PAD src0_sel:DWORD src1_sel:BYTE_0
	v_lshlrev_b32_sdwa v14, v42, v14 dst_sel:DWORD dst_unused:UNUSED_PAD src0_sel:DWORD src1_sel:BYTE_0
	v_add3_u32 v43, 0, v33, v34
	v_add3_u32 v86, 0, v13, v14
	ds_read_b128 v[33:36], v45 offset:5280
	ds_read_b128 v[37:40], v45 offset:3520
	;; [unrolled: 1-line block ×7, first 2 shown]
	ds_read_b128 v[68:71], v45
	ds_read_b128 v[72:75], v45 offset:1760
	v_mul_u32_u24_e32 v15, 0x120, v15
	v_lshlrev_b32_e32 v8, 4, v8
	v_add3_u32 v87, 0, v15, v8
	s_waitcnt vmcnt(0) lgkmcnt(0)
	s_barrier
	v_mul_f64 v[13:14], v[35:36], v[6:7]
	v_mul_f64 v[6:7], v[33:34], v[6:7]
	;; [unrolled: 1-line block ×8, first 2 shown]
	v_fma_f64 v[13:14], v[33:34], v[4:5], v[13:14]
	v_mul_f64 v[82:83], v[62:63], v[27:28]
	v_mul_f64 v[27:28], v[60:61], v[27:28]
	;; [unrolled: 1-line block ×4, first 2 shown]
	v_fma_f64 v[4:5], v[35:36], v[4:5], -v[6:7]
	v_fma_f64 v[33:34], v[48:49], v[9:10], v[76:77]
	v_fma_f64 v[6:7], v[50:51], v[9:10], -v[11:12]
	v_fma_f64 v[8:9], v[56:57], v[17:18], v[78:79]
	;; [unrolled: 2-line block ×5, first 2 shown]
	v_fma_f64 v[30:31], v[66:67], v[29:30], -v[31:32]
	v_add_f64 v[25:26], v[13:14], v[33:34]
	v_add_f64 v[27:28], v[4:5], v[6:7]
	;; [unrolled: 1-line block ×4, first 2 shown]
	v_add_f64 v[12:13], v[13:14], -v[33:34]
	v_add_f64 v[14:15], v[8:9], v[17:18]
	v_add_f64 v[54:55], v[10:11], v[19:20]
	;; [unrolled: 1-line block ×4, first 2 shown]
	v_add_f64 v[60:61], v[10:11], -v[19:20]
	v_add_f64 v[62:63], v[8:9], -v[17:18]
	v_add_f64 v[8:9], v[21:22], v[35:36]
	v_add_f64 v[10:11], v[23:24], v[30:31]
	v_add_f64 v[52:53], v[4:5], -v[6:7]
	v_add_f64 v[64:65], v[39:40], v[23:24]
	v_add_f64 v[66:67], v[37:38], v[21:22]
	v_add_f64 v[76:77], v[21:22], -v[35:36]
	v_fma_f64 v[21:22], v[25:26], -0.5, v[68:69]
	v_fma_f64 v[68:69], v[27:28], -0.5, v[70:71]
	v_add_f64 v[6:7], v[48:49], v[6:7]
	v_fma_f64 v[14:15], v[14:15], -0.5, v[72:73]
	v_fma_f64 v[48:49], v[54:55], -0.5, v[74:75]
	v_add_f64 v[23:24], v[23:24], -v[30:31]
	v_add_f64 v[4:5], v[50:51], v[33:34]
	v_fma_f64 v[50:51], v[8:9], -0.5, v[37:38]
	v_fma_f64 v[54:55], v[10:11], -0.5, v[39:40]
	v_add_f64 v[10:11], v[64:65], v[30:31]
	v_fma_f64 v[30:31], v[52:53], s[4:5], v[21:22]
	v_fma_f64 v[32:33], v[12:13], s[6:7], v[68:69]
	v_add_f64 v[8:9], v[66:67], v[35:36]
	v_fma_f64 v[34:35], v[52:53], s[6:7], v[21:22]
	v_fma_f64 v[36:37], v[12:13], s[4:5], v[68:69]
	v_add_f64 v[28:29], v[56:57], v[19:20]
	v_add_f64 v[26:27], v[58:59], v[17:18]
	v_fma_f64 v[38:39], v[60:61], s[4:5], v[14:15]
	v_fma_f64 v[40:41], v[62:63], s[6:7], v[48:49]
	;; [unrolled: 1-line block ×8, first 2 shown]
	ds_write_b128 v43, v[4:7]
	ds_write_b128 v43, v[30:33] offset:96
	ds_write_b128 v43, v[34:37] offset:192
	ds_write_b128 v86, v[26:29]
	ds_write_b128 v86, v[38:41] offset:96
	ds_write_b128 v86, v[18:21] offset:192
	;; [unrolled: 3-line block ×3, first 2 shown]
	s_waitcnt lgkmcnt(0)
	s_barrier
	ds_read_b128 v[4:7], v45
	ds_read_b128 v[38:41], v45 offset:3168
	ds_read_b128 v[34:37], v45 offset:6336
	;; [unrolled: 1-line block ×4, first 2 shown]
	s_movk_i32 s4, 0x58
	v_cmp_gt_u32_e32 vcc, s4, v44
	s_and_saveexec_b64 s[4:5], vcc
	s_cbranch_execz .LBB0_17
; %bb.16:
	ds_read_b128 v[18:21], v45 offset:1760
	ds_read_b128 v[8:11], v45 offset:4928
	;; [unrolled: 1-line block ×5, first 2 shown]
.LBB0_17:
	s_or_b64 exec, exec, s[4:5]
	v_mov_b32_e32 v17, 57
	v_mul_lo_u16_sdwa v43, v44, v17 dst_sel:DWORD dst_unused:UNUSED_PAD src0_sel:BYTE_0 src1_sel:DWORD
	v_lshrrev_b16_e32 v101, 10, v43
	v_mul_lo_u16_e32 v43, 18, v101
	v_sub_u16_e32 v102, v44, v43
	v_mov_b32_e32 v65, 6
	v_lshlrev_b32_sdwa v43, v65, v102 dst_sel:DWORD dst_unused:UNUSED_PAD src0_sel:DWORD src1_sel:BYTE_0
	global_load_dwordx4 v[49:52], v43, s[8:9] offset:256
	global_load_dwordx4 v[53:56], v43, s[8:9] offset:272
	global_load_dwordx4 v[57:60], v43, s[8:9] offset:288
	global_load_dwordx4 v[61:64], v43, s[8:9] offset:304
	v_mul_lo_u16_sdwa v17, v16, v17 dst_sel:DWORD dst_unused:UNUSED_PAD src0_sel:BYTE_0 src1_sel:DWORD
	v_lshrrev_b16_e32 v43, 10, v17
	v_mul_lo_u16_e32 v17, 18, v43
	v_sub_u16_e32 v48, v16, v17
	v_lshlrev_b32_sdwa v16, v65, v48 dst_sel:DWORD dst_unused:UNUSED_PAD src0_sel:DWORD src1_sel:BYTE_0
	global_load_dwordx4 v[65:68], v16, s[8:9] offset:256
	global_load_dwordx4 v[69:72], v16, s[8:9] offset:272
	;; [unrolled: 1-line block ×4, first 2 shown]
	s_mov_b32 s12, 0x134454ff
	s_mov_b32 s13, 0xbfee6f0e
	;; [unrolled: 1-line block ×10, first 2 shown]
	s_waitcnt vmcnt(0) lgkmcnt(0)
	s_barrier
	v_mul_f64 v[16:17], v[40:41], v[51:52]
	v_mul_f64 v[51:52], v[38:39], v[51:52]
	;; [unrolled: 1-line block ×14, first 2 shown]
	v_fma_f64 v[16:17], v[38:39], v[49:50], v[16:17]
	v_fma_f64 v[38:39], v[40:41], v[49:50], -v[51:52]
	v_fma_f64 v[34:35], v[34:35], v[53:54], v[81:82]
	v_fma_f64 v[30:31], v[30:31], v[57:58], v[83:84]
	;; [unrolled: 1-line block ×3, first 2 shown]
	v_mul_f64 v[71:72], v[12:13], v[71:72]
	v_mul_f64 v[75:76], v[22:23], v[75:76]
	v_fma_f64 v[36:37], v[36:37], v[53:54], -v[55:56]
	v_fma_f64 v[32:33], v[32:33], v[57:58], -v[59:60]
	;; [unrolled: 1-line block ×3, first 2 shown]
	v_fma_f64 v[40:41], v[8:9], v[65:66], v[87:88]
	v_fma_f64 v[49:50], v[10:11], v[65:66], -v[67:68]
	v_fma_f64 v[51:52], v[12:13], v[69:70], v[89:90]
	v_fma_f64 v[22:23], v[22:23], v[73:74], v[91:92]
	;; [unrolled: 1-line block ×3, first 2 shown]
	v_fma_f64 v[57:58], v[2:3], v[77:78], -v[79:80]
	v_add_f64 v[0:1], v[4:5], v[16:17]
	v_add_f64 v[2:3], v[6:7], v[38:39]
	;; [unrolled: 1-line block ×4, first 2 shown]
	v_fma_f64 v[53:54], v[14:15], v[69:70], -v[71:72]
	v_fma_f64 v[24:25], v[24:25], v[73:74], -v[75:76]
	v_add_f64 v[12:13], v[36:37], v[32:33]
	v_add_f64 v[14:15], v[38:39], v[28:29]
	v_add_f64 v[59:60], v[16:17], -v[34:35]
	v_add_f64 v[65:66], v[26:27], -v[30:31]
	;; [unrolled: 1-line block ×7, first 2 shown]
	v_add_f64 v[79:80], v[51:52], v[22:23]
	v_add_f64 v[85:86], v[40:41], v[55:56]
	;; [unrolled: 1-line block ×4, first 2 shown]
	v_fma_f64 v[8:9], v[8:9], -0.5, v[4:5]
	v_fma_f64 v[4:5], v[10:11], -0.5, v[4:5]
	v_add_f64 v[61:62], v[34:35], -v[16:17]
	v_add_f64 v[63:64], v[34:35], -v[30:31]
	;; [unrolled: 1-line block ×4, first 2 shown]
	v_add_f64 v[95:96], v[18:19], v[40:41]
	v_fma_f64 v[10:11], v[12:13], -0.5, v[6:7]
	v_fma_f64 v[6:7], v[14:15], -0.5, v[6:7]
	v_add_f64 v[12:13], v[59:60], v[65:66]
	v_add_f64 v[36:37], v[38:39], v[77:78]
	v_fma_f64 v[38:39], v[79:80], -0.5, v[18:19]
	v_fma_f64 v[59:60], v[85:86], -0.5, v[18:19]
	v_add_f64 v[0:1], v[0:1], v[30:31]
	v_add_f64 v[2:3], v[2:3], v[32:33]
	v_fma_f64 v[18:19], v[69:70], s[12:13], v[8:9]
	v_fma_f64 v[8:9], v[69:70], s[6:7], v[8:9]
	;; [unrolled: 1-line block ×3, first 2 shown]
	v_add_f64 v[75:76], v[28:29], -v[32:33]
	v_add_f64 v[81:82], v[49:50], -v[57:58]
	;; [unrolled: 1-line block ×3, first 2 shown]
	v_add_f64 v[14:15], v[61:62], v[67:68]
	v_fma_f64 v[4:5], v[73:74], s[12:13], v[4:5]
	v_fma_f64 v[32:33], v[16:17], s[6:7], v[10:11]
	;; [unrolled: 1-line block ×5, first 2 shown]
	v_add_f64 v[2:3], v[2:3], v[28:29]
	v_fma_f64 v[8:9], v[73:74], s[10:11], v[8:9]
	v_fma_f64 v[28:29], v[69:70], s[4:5], v[30:31]
	v_add_f64 v[91:92], v[53:54], v[24:25]
	v_add_f64 v[93:94], v[49:50], v[57:58]
	;; [unrolled: 1-line block ×4, first 2 shown]
	v_fma_f64 v[67:68], v[81:82], s[12:13], v[38:39]
	v_fma_f64 v[38:39], v[81:82], s[6:7], v[38:39]
	v_add_f64 v[0:1], v[0:1], v[26:27]
	v_fma_f64 v[18:19], v[73:74], s[4:5], v[18:19]
	v_fma_f64 v[26:27], v[63:64], s[10:11], v[32:33]
	;; [unrolled: 1-line block ×9, first 2 shown]
	v_add_f64 v[83:84], v[40:41], -v[51:52]
	v_add_f64 v[99:100], v[51:52], -v[40:41]
	v_fma_f64 v[4:5], v[12:13], s[14:15], v[18:19]
	v_fma_f64 v[6:7], v[34:35], s[14:15], v[26:27]
	;; [unrolled: 1-line block ×7, first 2 shown]
	v_fma_f64 v[34:35], v[91:92], -0.5, v[20:21]
	v_add_f64 v[36:37], v[95:96], v[51:52]
	v_add_f64 v[38:39], v[97:98], v[53:54]
	v_fma_f64 v[20:21], v[93:94], -0.5, v[20:21]
	v_add_f64 v[40:41], v[40:41], -v[55:56]
	v_fma_f64 v[63:64], v[81:82], s[10:11], v[28:29]
	v_add_f64 v[28:29], v[51:52], -v[22:23]
	v_add_f64 v[87:88], v[55:56], -v[22:23]
	v_fma_f64 v[71:72], v[89:90], s[6:7], v[59:60]
	v_add_f64 v[26:27], v[22:23], -v[55:56]
	v_fma_f64 v[30:31], v[89:90], s[4:5], v[67:68]
	v_add_f64 v[22:23], v[36:37], v[22:23]
	v_add_f64 v[36:37], v[38:39], v[24:25]
	v_add_f64 v[38:39], v[49:50], -v[53:54]
	v_add_f64 v[51:52], v[57:58], -v[24:25]
	;; [unrolled: 1-line block ×3, first 2 shown]
	v_fma_f64 v[53:54], v[40:41], s[6:7], v[34:35]
	v_fma_f64 v[34:35], v[40:41], s[12:13], v[34:35]
	;; [unrolled: 1-line block ×3, first 2 shown]
	v_add_f64 v[24:25], v[24:25], -v[57:58]
	v_fma_f64 v[67:68], v[28:29], s[6:7], v[20:21]
	v_add_f64 v[61:62], v[83:84], v[87:88]
	v_add_f64 v[26:27], v[99:100], v[26:27]
	v_fma_f64 v[59:60], v[81:82], s[4:5], v[71:72]
	v_add_f64 v[38:39], v[38:39], v[51:52]
	v_fma_f64 v[51:52], v[28:29], s[10:11], v[53:54]
	v_fma_f64 v[34:35], v[28:29], s[4:5], v[34:35]
	v_fma_f64 v[53:54], v[40:41], s[10:11], v[65:66]
	v_add_f64 v[49:50], v[49:50], v[24:25]
	v_fma_f64 v[40:41], v[40:41], s[4:5], v[67:68]
	v_add_f64 v[20:21], v[22:23], v[55:56]
	v_add_f64 v[22:23], v[36:37], v[57:58]
	v_fma_f64 v[24:25], v[61:62], s[14:15], v[30:31]
	v_fma_f64 v[36:37], v[61:62], s[14:15], v[32:33]
	;; [unrolled: 1-line block ×8, first 2 shown]
	v_mul_u32_u24_e32 v40, 0x5a0, v101
	v_lshlrev_b32_sdwa v41, v42, v102 dst_sel:DWORD dst_unused:UNUSED_PAD src0_sel:DWORD src1_sel:BYTE_0
	v_add3_u32 v40, 0, v40, v41
	ds_write_b128 v40, v[0:3]
	ds_write_b128 v40, v[4:7] offset:288
	ds_write_b128 v40, v[8:11] offset:576
	;; [unrolled: 1-line block ×4, first 2 shown]
	s_and_saveexec_b64 s[4:5], vcc
	s_cbranch_execz .LBB0_19
; %bb.18:
	v_mov_b32_e32 v41, 4
	v_mul_u32_u24_e32 v40, 0x5a0, v43
	v_lshlrev_b32_sdwa v41, v41, v48 dst_sel:DWORD dst_unused:UNUSED_PAD src0_sel:DWORD src1_sel:BYTE_0
	v_add3_u32 v40, 0, v40, v41
	ds_write_b128 v40, v[20:23]
	ds_write_b128 v40, v[24:27] offset:288
	ds_write_b128 v40, v[28:31] offset:576
	;; [unrolled: 1-line block ×4, first 2 shown]
.LBB0_19:
	s_or_b64 exec, exec, s[4:5]
	s_movk_i32 s4, 0x5a
	v_cmp_gt_u32_e32 vcc, s4, v44
	s_waitcnt lgkmcnt(0)
	s_barrier
	s_waitcnt lgkmcnt(0)
                                        ; implicit-def: $vgpr42_vgpr43
	s_and_saveexec_b64 s[4:5], vcc
	s_cbranch_execnz .LBB0_22
; %bb.20:
	s_or_b64 exec, exec, s[4:5]
	s_and_b64 s[0:1], s[0:1], vcc
	s_and_saveexec_b64 s[4:5], s[0:1]
	s_cbranch_execnz .LBB0_23
.LBB0_21:
	s_endpgm
.LBB0_22:
	ds_read_b128 v[0:3], v45
	ds_read_b128 v[4:7], v45 offset:1440
	ds_read_b128 v[8:11], v45 offset:2880
	;; [unrolled: 1-line block ×10, first 2 shown]
	s_or_b64 exec, exec, s[4:5]
	s_and_b64 s[0:1], s[0:1], vcc
	s_and_saveexec_b64 s[4:5], s[0:1]
	s_cbranch_execz .LBB0_21
.LBB0_23:
	v_mul_u32_u24_e32 v45, 10, v44
	v_lshlrev_b32_e32 v45, 4, v45
	global_load_dwordx4 v[48:51], v45, s[8:9] offset:1472
	global_load_dwordx4 v[54:57], v45, s[8:9] offset:1488
	;; [unrolled: 1-line block ×10, first 2 shown]
	s_mov_b32 s4, 0xfd768dbf
	s_mov_b32 s5, 0xbfd207e7
	;; [unrolled: 1-line block ×26, first 2 shown]
	v_mov_b32_e32 v45, 0
	s_waitcnt vmcnt(9) lgkmcnt(5)
	v_mul_f64 v[52:53], v[22:23], v[50:51]
	v_mul_f64 v[74:75], v[20:21], v[50:51]
	s_waitcnt vmcnt(8) lgkmcnt(4)
	v_mul_f64 v[84:85], v[26:27], v[56:57]
	v_mul_f64 v[56:57], v[24:25], v[56:57]
	s_waitcnt vmcnt(7)
	v_mul_f64 v[86:87], v[18:19], v[60:61]
	s_waitcnt vmcnt(5)
	v_mul_f64 v[98:99], v[6:7], v[68:69]
	s_waitcnt vmcnt(4) lgkmcnt(0)
	v_mul_f64 v[100:101], v[42:43], v[72:73]
	v_mul_f64 v[60:61], v[16:17], v[60:61]
	;; [unrolled: 1-line block ×5, first 2 shown]
	s_waitcnt vmcnt(3)
	v_mul_f64 v[104:105], v[38:39], v[78:79]
	v_fma_f64 v[50:51], v[20:21], v[48:49], v[52:53]
	v_fma_f64 v[52:53], v[22:23], v[48:49], -v[74:75]
	v_fma_f64 v[24:25], v[24:25], v[54:55], v[84:85]
	v_fma_f64 v[48:49], v[26:27], v[54:55], -v[56:57]
	v_fma_f64 v[54:55], v[16:17], v[58:59], v[86:87]
	v_fma_f64 v[84:85], v[4:5], v[66:67], v[98:99]
	;; [unrolled: 1-line block ×3, first 2 shown]
	v_mul_f64 v[64:65], v[8:9], v[64:65]
	s_waitcnt vmcnt(2)
	v_mul_f64 v[106:107], v[30:31], v[82:83]
	v_mul_f64 v[78:79], v[36:37], v[78:79]
	;; [unrolled: 1-line block ×3, first 2 shown]
	s_waitcnt vmcnt(1)
	v_mul_f64 v[108:109], v[14:15], v[90:91]
	s_waitcnt vmcnt(0)
	v_mul_f64 v[110:111], v[34:35], v[94:95]
	v_mul_f64 v[90:91], v[12:13], v[90:91]
	v_fma_f64 v[56:57], v[18:19], v[58:59], -v[60:61]
	v_fma_f64 v[72:73], v[8:9], v[62:63], v[96:97]
	v_fma_f64 v[86:87], v[6:7], v[66:67], -v[68:69]
	v_fma_f64 v[18:19], v[42:43], v[70:71], -v[102:103]
	v_fma_f64 v[20:21], v[36:37], v[76:77], v[104:105]
	v_add_f64 v[104:105], v[84:85], -v[16:17]
	v_mul_f64 v[94:95], v[32:33], v[94:95]
	v_fma_f64 v[74:75], v[10:11], v[62:63], -v[64:65]
	v_fma_f64 v[22:23], v[38:39], v[76:77], -v[78:79]
	v_fma_f64 v[26:27], v[28:29], v[80:81], v[106:107]
	v_fma_f64 v[28:29], v[30:31], v[80:81], -v[82:83]
	v_fma_f64 v[66:67], v[12:13], v[88:89], v[108:109]
	;; [unrolled: 2-line block ×3, first 2 shown]
	v_add_f64 v[82:83], v[72:73], -v[20:21]
	v_add_f64 v[88:89], v[86:87], v[18:19]
	v_add_f64 v[108:109], v[86:87], -v[18:19]
	v_mul_f64 v[4:5], v[104:105], s[4:5]
	v_fma_f64 v[14:15], v[34:35], v[92:93], -v[94:95]
	v_add_f64 v[64:65], v[74:75], v[22:23]
	v_add_f64 v[78:79], v[74:75], -v[22:23]
	v_add_f64 v[90:91], v[84:85], v[16:17]
	v_add_f64 v[80:81], v[66:67], -v[12:13]
	v_mul_f64 v[8:9], v[82:83], s[20:21]
	v_mul_f64 v[6:7], v[108:109], s[4:5]
	v_fma_f64 v[118:119], v[88:89], s[0:1], v[4:5]
	v_fma_f64 v[4:5], v[88:89], s[0:1], -v[4:5]
	v_add_f64 v[42:43], v[72:73], v[20:21]
	v_add_f64 v[62:63], v[68:69], v[14:15]
	v_add_f64 v[70:71], v[68:69], -v[14:15]
	v_add_f64 v[76:77], v[54:55], -v[26:27]
	v_mul_f64 v[10:11], v[78:79], s[20:21]
	v_mul_f64 v[92:93], v[80:81], s[10:11]
	;; [unrolled: 1-line block ×3, first 2 shown]
	v_fma_f64 v[120:121], v[90:91], s[0:1], -v[6:7]
	v_fma_f64 v[122:123], v[64:65], s[6:7], v[8:9]
	v_fma_f64 v[6:7], v[90:91], s[0:1], v[6:7]
	v_fma_f64 v[8:9], v[64:65], s[6:7], -v[8:9]
	v_add_f64 v[118:119], v[2:3], v[118:119]
	v_add_f64 v[4:5], v[2:3], v[4:5]
	;; [unrolled: 1-line block ×4, first 2 shown]
	v_add_f64 v[60:61], v[56:57], -v[28:29]
	v_add_f64 v[38:39], v[50:51], -v[24:25]
	v_mul_f64 v[94:95], v[70:71], s[10:11]
	v_mul_f64 v[96:97], v[76:77], s[18:19]
	;; [unrolled: 1-line block ×3, first 2 shown]
	v_fma_f64 v[124:125], v[42:43], s[6:7], -v[10:11]
	v_fma_f64 v[126:127], v[88:89], s[8:9], v[98:99]
	v_fma_f64 v[10:11], v[42:43], s[6:7], v[10:11]
	;; [unrolled: 1-line block ×3, first 2 shown]
	v_fma_f64 v[92:93], v[62:63], s[8:9], -v[92:93]
	v_add_f64 v[120:121], v[0:1], v[120:121]
	v_add_f64 v[6:7], v[0:1], v[6:7]
	;; [unrolled: 1-line block ×6, first 2 shown]
	v_add_f64 v[40:41], v[52:53], -v[48:49]
	v_mul_f64 v[102:103], v[60:61], s[18:19]
	v_mul_f64 v[106:107], v[38:39], s[16:17]
	;; [unrolled: 1-line block ×4, first 2 shown]
	v_fma_f64 v[128:129], v[64:65], s[14:15], v[100:101]
	v_fma_f64 v[132:133], v[36:37], s[8:9], -v[94:95]
	v_fma_f64 v[94:95], v[36:37], s[8:9], v[94:95]
	v_fma_f64 v[134:135], v[58:59], s[12:13], v[96:97]
	v_fma_f64 v[96:97], v[58:59], s[12:13], -v[96:97]
	v_add_f64 v[120:121], v[124:125], v[120:121]
	v_add_f64 v[8:9], v[2:3], v[126:127]
	;; [unrolled: 1-line block ×6, first 2 shown]
	v_mul_f64 v[110:111], v[40:41], s[16:17]
	v_mul_f64 v[116:117], v[78:79], s[24:25]
	v_fma_f64 v[122:123], v[34:35], s[12:13], -v[102:103]
	v_fma_f64 v[124:125], v[90:91], s[8:9], -v[114:115]
	v_fma_f64 v[102:103], v[34:35], s[12:13], v[102:103]
	v_fma_f64 v[118:119], v[30:31], s[14:15], v[106:107]
	v_add_f64 v[120:121], v[132:133], v[120:121]
	v_add_f64 v[8:9], v[128:129], v[8:9]
	v_add_f64 v[6:7], v[94:95], v[6:7]
	v_add_f64 v[10:11], v[134:135], v[10:11]
	v_add_f64 v[96:97], v[96:97], v[4:5]
	v_mul_f64 v[126:127], v[76:77], s[4:5]
	v_fma_f64 v[4:5], v[62:63], s[6:7], v[112:113]
	v_add_f64 v[124:125], v[0:1], v[124:125]
	v_fma_f64 v[92:93], v[42:43], s[14:15], -v[116:117]
	v_mul_f64 v[94:95], v[70:71], s[22:23]
	v_add_f64 v[120:121], v[122:123], v[120:121]
	v_fma_f64 v[122:123], v[32:33], s[14:15], -v[110:111]
	v_fma_f64 v[106:107], v[30:31], s[14:15], -v[106:107]
	v_fma_f64 v[110:111], v[32:33], s[14:15], v[110:111]
	v_add_f64 v[102:103], v[102:103], v[6:7]
	v_add_f64 v[6:7], v[118:119], v[10:11]
	v_fma_f64 v[10:11], v[88:89], s[8:9], -v[98:99]
	v_add_f64 v[98:99], v[4:5], v[8:9]
	v_fma_f64 v[118:119], v[58:59], s[0:1], v[126:127]
	v_fma_f64 v[114:115], v[90:91], s[8:9], v[114:115]
	v_add_f64 v[92:93], v[92:93], v[124:125]
	v_fma_f64 v[124:125], v[36:37], s[6:7], -v[94:95]
	v_mul_f64 v[128:129], v[60:61], s[4:5]
	v_add_f64 v[4:5], v[122:123], v[120:121]
	v_add_f64 v[120:121], v[2:3], v[10:11]
	;; [unrolled: 1-line block ×5, first 2 shown]
	v_mul_f64 v[98:99], v[104:105], s[16:17]
	v_fma_f64 v[102:103], v[42:43], s[14:15], v[116:117]
	v_add_f64 v[106:107], v[0:1], v[114:115]
	v_add_f64 v[92:93], v[124:125], v[92:93]
	v_fma_f64 v[124:125], v[34:35], s[0:1], -v[128:129]
	v_fma_f64 v[100:101], v[64:65], s[14:15], -v[100:101]
	v_mul_f64 v[116:117], v[82:83], s[26:27]
	v_fma_f64 v[94:95], v[36:37], s[6:7], v[94:95]
	v_fma_f64 v[114:115], v[88:89], s[14:15], v[98:99]
	v_mul_f64 v[110:111], v[38:39], s[18:19]
	v_add_f64 v[102:103], v[102:103], v[106:107]
	v_mul_f64 v[106:107], v[108:109], s[16:17]
	v_add_f64 v[92:93], v[124:125], v[92:93]
	v_add_f64 v[100:101], v[100:101], v[120:121]
	v_fma_f64 v[112:113], v[62:63], s[6:7], -v[112:113]
	v_fma_f64 v[120:121], v[64:65], s[0:1], v[116:117]
	v_add_f64 v[114:115], v[2:3], v[114:115]
	v_mul_f64 v[122:123], v[80:81], s[18:19]
	v_add_f64 v[102:103], v[94:95], v[102:103]
	v_fma_f64 v[94:95], v[90:91], s[14:15], -v[106:107]
	v_mul_f64 v[124:125], v[78:79], s[26:27]
	v_mul_f64 v[118:119], v[40:41], s[18:19]
	v_add_f64 v[100:101], v[112:113], v[100:101]
	v_fma_f64 v[112:113], v[30:31], s[12:13], v[110:111]
	v_fma_f64 v[126:127], v[58:59], s[0:1], -v[126:127]
	v_add_f64 v[114:115], v[120:121], v[114:115]
	v_fma_f64 v[120:121], v[62:63], s[12:13], v[122:123]
	v_mul_f64 v[132:133], v[76:77], s[22:23]
	v_add_f64 v[134:135], v[0:1], v[94:95]
	v_fma_f64 v[136:137], v[42:43], s[0:1], -v[124:125]
	v_mul_f64 v[138:139], v[70:71], s[18:19]
	v_fma_f64 v[130:131], v[32:33], s[12:13], -v[118:119]
	v_fma_f64 v[128:129], v[34:35], s[0:1], v[128:129]
	v_add_f64 v[94:95], v[112:113], v[96:97]
	v_add_f64 v[96:97], v[126:127], v[100:101]
	v_fma_f64 v[100:101], v[30:31], s[12:13], -v[110:111]
	v_add_f64 v[110:111], v[120:121], v[114:115]
	v_fma_f64 v[112:113], v[58:59], s[6:7], v[132:133]
	v_add_f64 v[114:115], v[136:137], v[134:135]
	v_fma_f64 v[120:121], v[36:37], s[12:13], -v[138:139]
	v_mul_f64 v[126:127], v[60:61], s[22:23]
	v_add_f64 v[92:93], v[130:131], v[92:93]
	v_add_f64 v[102:103], v[128:129], v[102:103]
	v_mul_f64 v[128:129], v[38:39], s[10:11]
	v_fma_f64 v[118:119], v[32:33], s[12:13], v[118:119]
	v_fma_f64 v[130:131], v[88:89], s[14:15], -v[98:99]
	v_add_f64 v[98:99], v[100:101], v[96:97]
	v_add_f64 v[100:101], v[112:113], v[110:111]
	;; [unrolled: 1-line block ×3, first 2 shown]
	v_fma_f64 v[112:113], v[34:35], s[6:7], -v[126:127]
	v_mul_f64 v[114:115], v[40:41], s[10:11]
	s_mov_b32 s19, 0xbfed1bb4
	v_fma_f64 v[120:121], v[30:31], s[8:9], v[128:129]
	v_fma_f64 v[116:117], v[64:65], s[0:1], -v[116:117]
	v_add_f64 v[130:131], v[2:3], v[130:131]
	v_add_f64 v[96:97], v[118:119], v[102:103]
	v_mul_f64 v[118:119], v[104:105], s[18:19]
	v_add_f64 v[110:111], v[112:113], v[110:111]
	v_fma_f64 v[112:113], v[32:33], s[8:9], -v[114:115]
	v_mul_f64 v[134:135], v[108:109], s[18:19]
	v_add_f64 v[102:103], v[120:121], v[100:101]
	v_fma_f64 v[106:107], v[90:91], s[14:15], v[106:107]
	v_add_f64 v[116:117], v[116:117], v[130:131]
	v_fma_f64 v[120:121], v[62:63], s[12:13], -v[122:123]
	v_fma_f64 v[122:123], v[88:89], s[12:13], v[118:119]
	v_mul_f64 v[130:131], v[82:83], s[10:11]
	v_add_f64 v[100:101], v[112:113], v[110:111]
	v_fma_f64 v[110:111], v[90:91], s[12:13], -v[134:135]
	v_mul_f64 v[112:113], v[78:79], s[10:11]
	v_fma_f64 v[124:125], v[42:43], s[0:1], v[124:125]
	v_add_f64 v[106:107], v[0:1], v[106:107]
	v_add_f64 v[116:117], v[120:121], v[116:117]
	;; [unrolled: 1-line block ×3, first 2 shown]
	v_fma_f64 v[122:123], v[64:65], s[8:9], v[130:131]
	v_mul_f64 v[136:137], v[80:81], s[26:27]
	v_add_f64 v[110:111], v[0:1], v[110:111]
	v_fma_f64 v[140:141], v[42:43], s[8:9], -v[112:113]
	v_mul_f64 v[142:143], v[70:71], s[26:27]
	v_add_f64 v[86:87], v[2:3], v[86:87]
	v_add_f64 v[84:85], v[0:1], v[84:85]
	v_add_f64 v[106:107], v[124:125], v[106:107]
	v_fma_f64 v[124:125], v[36:37], s[12:13], v[138:139]
	v_fma_f64 v[132:133], v[58:59], s[6:7], -v[132:133]
	v_add_f64 v[120:121], v[122:123], v[120:121]
	v_fma_f64 v[122:123], v[62:63], s[0:1], v[136:137]
	v_mul_f64 v[138:139], v[76:77], s[24:25]
	v_add_f64 v[110:111], v[140:141], v[110:111]
	v_fma_f64 v[140:141], v[36:37], s[0:1], -v[142:143]
	v_mul_f64 v[144:145], v[60:61], s[24:25]
	v_add_f64 v[74:75], v[74:75], v[86:87]
	v_add_f64 v[72:73], v[72:73], v[84:85]
	;; [unrolled: 1-line block ×3, first 2 shown]
	v_fma_f64 v[124:125], v[34:35], s[6:7], v[126:127]
	v_add_f64 v[116:117], v[132:133], v[116:117]
	v_fma_f64 v[126:127], v[30:31], s[8:9], -v[128:129]
	v_add_f64 v[120:121], v[122:123], v[120:121]
	v_fma_f64 v[122:123], v[58:59], s[14:15], v[138:139]
	v_add_f64 v[110:111], v[140:141], v[110:111]
	v_fma_f64 v[128:129], v[34:35], s[14:15], -v[144:145]
	v_mul_f64 v[132:133], v[38:39], s[20:21]
	v_mul_f64 v[140:141], v[40:41], s[20:21]
	v_add_f64 v[68:69], v[68:69], v[74:75]
	v_add_f64 v[66:67], v[66:67], v[72:73]
	;; [unrolled: 1-line block ×6, first 2 shown]
	v_fma_f64 v[110:111], v[30:31], s[6:7], v[132:133]
	v_mul_f64 v[122:123], v[104:105], s[22:23]
	v_fma_f64 v[114:115], v[32:33], s[8:9], v[114:115]
	v_fma_f64 v[118:119], v[88:89], s[12:13], -v[118:119]
	v_fma_f64 v[126:127], v[32:33], s[6:7], -v[140:141]
	v_mul_f64 v[128:129], v[108:109], s[22:23]
	v_add_f64 v[56:57], v[56:57], v[68:69]
	v_add_f64 v[54:55], v[54:55], v[66:67]
	;; [unrolled: 1-line block ×3, first 2 shown]
	v_fma_f64 v[116:117], v[88:89], s[6:7], v[122:123]
	v_mul_f64 v[82:83], v[82:83], s[18:19]
	v_add_f64 v[104:105], v[114:115], v[124:125]
	v_fma_f64 v[114:115], v[90:91], s[12:13], v[134:135]
	v_add_f64 v[118:119], v[2:3], v[118:119]
	v_fma_f64 v[124:125], v[64:65], s[8:9], -v[130:131]
	v_add_f64 v[108:109], v[126:127], v[120:121]
	v_fma_f64 v[120:121], v[90:91], s[6:7], -v[128:129]
	v_fma_f64 v[90:91], v[90:91], s[6:7], v[128:129]
	v_mul_f64 v[78:79], v[78:79], s[18:19]
	v_add_f64 v[52:53], v[52:53], v[56:57]
	v_add_f64 v[50:51], v[50:51], v[54:55]
	v_fma_f64 v[88:89], v[88:89], s[6:7], -v[122:123]
	v_add_f64 v[116:117], v[2:3], v[116:117]
	v_fma_f64 v[84:85], v[64:65], s[12:13], v[82:83]
	v_mul_f64 v[80:81], v[80:81], s[16:17]
	v_add_f64 v[114:115], v[0:1], v[114:115]
	v_add_f64 v[118:119], v[124:125], v[118:119]
	v_fma_f64 v[122:123], v[62:63], s[0:1], -v[136:137]
	v_fma_f64 v[112:113], v[42:43], s[8:9], v[112:113]
	v_add_f64 v[120:121], v[0:1], v[120:121]
	v_add_f64 v[0:1], v[0:1], v[90:91]
	v_fma_f64 v[90:91], v[42:43], s[12:13], -v[78:79]
	v_mul_f64 v[70:71], v[70:71], s[16:17]
	v_fma_f64 v[42:43], v[42:43], s[12:13], v[78:79]
	v_add_f64 v[48:49], v[48:49], v[52:53]
	v_add_f64 v[24:25], v[24:25], v[50:51]
	;; [unrolled: 1-line block ×3, first 2 shown]
	v_fma_f64 v[64:65], v[64:65], s[12:13], -v[82:83]
	v_add_f64 v[74:75], v[84:85], v[116:117]
	v_fma_f64 v[84:85], v[62:63], s[14:15], v[80:81]
	v_add_f64 v[88:89], v[122:123], v[118:119]
	v_fma_f64 v[118:119], v[58:59], s[14:15], -v[138:139]
	v_add_f64 v[112:113], v[112:113], v[114:115]
	v_fma_f64 v[114:115], v[36:37], s[0:1], v[142:143]
	v_fma_f64 v[82:83], v[36:37], s[14:15], -v[70:71]
	v_mul_f64 v[56:57], v[60:61], s[10:11]
	v_fma_f64 v[36:37], v[36:37], s[14:15], v[70:71]
	v_add_f64 v[0:1], v[42:43], v[0:1]
	v_add_f64 v[28:29], v[28:29], v[48:49]
	;; [unrolled: 1-line block ×3, first 2 shown]
	v_mul_f64 v[76:77], v[76:77], s[10:11]
	v_fma_f64 v[54:55], v[62:63], s[14:15], -v[80:81]
	v_add_f64 v[2:3], v[64:65], v[2:3]
	v_add_f64 v[68:69], v[84:85], v[74:75]
	;; [unrolled: 1-line block ×5, first 2 shown]
	v_fma_f64 v[72:73], v[34:35], s[14:15], v[144:145]
	v_fma_f64 v[52:53], v[34:35], s[8:9], -v[56:57]
	v_mul_f64 v[26:27], v[40:41], s[4:5]
	v_fma_f64 v[34:35], v[34:35], s[8:9], v[56:57]
	v_add_f64 v[0:1], v[36:37], v[0:1]
	v_add_f64 v[14:15], v[14:15], v[28:29]
	;; [unrolled: 1-line block ×3, first 2 shown]
	v_fma_f64 v[50:51], v[58:59], s[8:9], -v[76:77]
	v_add_f64 v[2:3], v[54:55], v[2:3]
	v_mul_f64 v[38:39], v[38:39], s[4:5]
	v_add_f64 v[62:63], v[82:83], v[74:75]
	v_add_f64 v[66:67], v[72:73], v[88:89]
	v_fma_f64 v[72:73], v[58:59], s[8:9], v[76:77]
	v_fma_f64 v[42:43], v[32:33], s[6:7], v[140:141]
	v_fma_f64 v[24:25], v[32:33], s[0:1], -v[26:27]
	v_fma_f64 v[26:27], v[32:33], s[0:1], v[26:27]
	v_add_f64 v[32:33], v[34:35], v[0:1]
	v_add_f64 v[34:35], v[22:23], v[14:15]
	;; [unrolled: 1-line block ×3, first 2 shown]
	v_fma_f64 v[40:41], v[30:31], s[6:7], -v[132:133]
	v_fma_f64 v[36:37], v[30:31], s[0:1], v[38:39]
	v_fma_f64 v[30:31], v[30:31], s[0:1], -v[38:39]
	v_add_f64 v[38:39], v[50:51], v[2:3]
	v_add_f64 v[28:29], v[52:53], v[62:63]
	;; [unrolled: 1-line block ×10, first 2 shown]
	v_mov_b32_e32 v24, s3
	v_add_co_u32_e32 v26, vcc, s2, v46
	v_addc_co_u32_e32 v27, vcc, v24, v47, vcc
	v_lshlrev_b64 v[24:25], 4, v[44:45]
	v_add_f64 v[14:15], v[36:37], v[60:61]
	v_add_co_u32_e32 v24, vcc, v26, v24
	v_addc_co_u32_e32 v25, vcc, v27, v25, vcc
	s_movk_i32 s0, 0x1000
	global_store_dwordx4 v[24:25], v[16:19], off
	global_store_dwordx4 v[24:25], v[20:23], off offset:1440
	global_store_dwordx4 v[24:25], v[0:3], off offset:2880
	s_nop 0
	v_add_co_u32_e32 v0, vcc, s0, v24
	v_addc_co_u32_e32 v1, vcc, 0, v25, vcc
	s_movk_i32 s0, 0x2000
	global_store_dwordx4 v[0:1], v[104:107], off offset:224
	global_store_dwordx4 v[0:1], v[96:99], off offset:1664
	global_store_dwordx4 v[0:1], v[8:11], off offset:3104
	v_add_co_u32_e32 v0, vcc, s0, v24
	v_addc_co_u32_e32 v1, vcc, 0, v25, vcc
	global_store_dwordx4 v[0:1], v[4:7], off offset:448
	global_store_dwordx4 v[0:1], v[92:95], off offset:1888
	;; [unrolled: 1-line block ×3, first 2 shown]
	v_add_co_u32_e32 v0, vcc, 0x3000, v24
	v_addc_co_u32_e32 v1, vcc, 0, v25, vcc
	global_store_dwordx4 v[0:1], v[108:111], off offset:672
	global_store_dwordx4 v[0:1], v[12:15], off offset:2112
	s_endpgm
	.section	.rodata,"a",@progbits
	.p2align	6, 0x0
	.amdhsa_kernel fft_rtc_back_len990_factors_2_3_3_5_11_wgs_110_tpt_110_dp_ip_CI_unitstride_sbrr_dirReg
		.amdhsa_group_segment_fixed_size 0
		.amdhsa_private_segment_fixed_size 0
		.amdhsa_kernarg_size 88
		.amdhsa_user_sgpr_count 6
		.amdhsa_user_sgpr_private_segment_buffer 1
		.amdhsa_user_sgpr_dispatch_ptr 0
		.amdhsa_user_sgpr_queue_ptr 0
		.amdhsa_user_sgpr_kernarg_segment_ptr 1
		.amdhsa_user_sgpr_dispatch_id 0
		.amdhsa_user_sgpr_flat_scratch_init 0
		.amdhsa_user_sgpr_private_segment_size 0
		.amdhsa_uses_dynamic_stack 0
		.amdhsa_system_sgpr_private_segment_wavefront_offset 0
		.amdhsa_system_sgpr_workgroup_id_x 1
		.amdhsa_system_sgpr_workgroup_id_y 0
		.amdhsa_system_sgpr_workgroup_id_z 0
		.amdhsa_system_sgpr_workgroup_info 0
		.amdhsa_system_vgpr_workitem_id 0
		.amdhsa_next_free_vgpr 146
		.amdhsa_next_free_sgpr 28
		.amdhsa_reserve_vcc 1
		.amdhsa_reserve_flat_scratch 0
		.amdhsa_float_round_mode_32 0
		.amdhsa_float_round_mode_16_64 0
		.amdhsa_float_denorm_mode_32 3
		.amdhsa_float_denorm_mode_16_64 3
		.amdhsa_dx10_clamp 1
		.amdhsa_ieee_mode 1
		.amdhsa_fp16_overflow 0
		.amdhsa_exception_fp_ieee_invalid_op 0
		.amdhsa_exception_fp_denorm_src 0
		.amdhsa_exception_fp_ieee_div_zero 0
		.amdhsa_exception_fp_ieee_overflow 0
		.amdhsa_exception_fp_ieee_underflow 0
		.amdhsa_exception_fp_ieee_inexact 0
		.amdhsa_exception_int_div_zero 0
	.end_amdhsa_kernel
	.text
.Lfunc_end0:
	.size	fft_rtc_back_len990_factors_2_3_3_5_11_wgs_110_tpt_110_dp_ip_CI_unitstride_sbrr_dirReg, .Lfunc_end0-fft_rtc_back_len990_factors_2_3_3_5_11_wgs_110_tpt_110_dp_ip_CI_unitstride_sbrr_dirReg
                                        ; -- End function
	.section	.AMDGPU.csdata,"",@progbits
; Kernel info:
; codeLenInByte = 8232
; NumSgprs: 32
; NumVgprs: 146
; ScratchSize: 0
; MemoryBound: 1
; FloatMode: 240
; IeeeMode: 1
; LDSByteSize: 0 bytes/workgroup (compile time only)
; SGPRBlocks: 3
; VGPRBlocks: 36
; NumSGPRsForWavesPerEU: 32
; NumVGPRsForWavesPerEU: 146
; Occupancy: 1
; WaveLimiterHint : 1
; COMPUTE_PGM_RSRC2:SCRATCH_EN: 0
; COMPUTE_PGM_RSRC2:USER_SGPR: 6
; COMPUTE_PGM_RSRC2:TRAP_HANDLER: 0
; COMPUTE_PGM_RSRC2:TGID_X_EN: 1
; COMPUTE_PGM_RSRC2:TGID_Y_EN: 0
; COMPUTE_PGM_RSRC2:TGID_Z_EN: 0
; COMPUTE_PGM_RSRC2:TIDIG_COMP_CNT: 0
	.type	__hip_cuid_a4536fc31eecade6,@object ; @__hip_cuid_a4536fc31eecade6
	.section	.bss,"aw",@nobits
	.globl	__hip_cuid_a4536fc31eecade6
__hip_cuid_a4536fc31eecade6:
	.byte	0                               ; 0x0
	.size	__hip_cuid_a4536fc31eecade6, 1

	.ident	"AMD clang version 19.0.0git (https://github.com/RadeonOpenCompute/llvm-project roc-6.4.0 25133 c7fe45cf4b819c5991fe208aaa96edf142730f1d)"
	.section	".note.GNU-stack","",@progbits
	.addrsig
	.addrsig_sym __hip_cuid_a4536fc31eecade6
	.amdgpu_metadata
---
amdhsa.kernels:
  - .args:
      - .actual_access:  read_only
        .address_space:  global
        .offset:         0
        .size:           8
        .value_kind:     global_buffer
      - .offset:         8
        .size:           8
        .value_kind:     by_value
      - .actual_access:  read_only
        .address_space:  global
        .offset:         16
        .size:           8
        .value_kind:     global_buffer
      - .actual_access:  read_only
        .address_space:  global
        .offset:         24
        .size:           8
        .value_kind:     global_buffer
      - .offset:         32
        .size:           8
        .value_kind:     by_value
      - .actual_access:  read_only
        .address_space:  global
        .offset:         40
        .size:           8
        .value_kind:     global_buffer
      - .actual_access:  read_only
        .address_space:  global
        .offset:         48
        .size:           8
        .value_kind:     global_buffer
      - .offset:         56
        .size:           4
        .value_kind:     by_value
      - .actual_access:  read_only
        .address_space:  global
        .offset:         64
        .size:           8
        .value_kind:     global_buffer
      - .actual_access:  read_only
        .address_space:  global
        .offset:         72
        .size:           8
        .value_kind:     global_buffer
      - .address_space:  global
        .offset:         80
        .size:           8
        .value_kind:     global_buffer
    .group_segment_fixed_size: 0
    .kernarg_segment_align: 8
    .kernarg_segment_size: 88
    .language:       OpenCL C
    .language_version:
      - 2
      - 0
    .max_flat_workgroup_size: 110
    .name:           fft_rtc_back_len990_factors_2_3_3_5_11_wgs_110_tpt_110_dp_ip_CI_unitstride_sbrr_dirReg
    .private_segment_fixed_size: 0
    .sgpr_count:     32
    .sgpr_spill_count: 0
    .symbol:         fft_rtc_back_len990_factors_2_3_3_5_11_wgs_110_tpt_110_dp_ip_CI_unitstride_sbrr_dirReg.kd
    .uniform_work_group_size: 1
    .uses_dynamic_stack: false
    .vgpr_count:     146
    .vgpr_spill_count: 0
    .wavefront_size: 64
amdhsa.target:   amdgcn-amd-amdhsa--gfx906
amdhsa.version:
  - 1
  - 2
...

	.end_amdgpu_metadata
